;; amdgpu-corpus repo=ROCm/rocFFT kind=compiled arch=gfx906 opt=O3
	.text
	.amdgcn_target "amdgcn-amd-amdhsa--gfx906"
	.amdhsa_code_object_version 6
	.protected	fft_rtc_back_len121_factors_11_11_wgs_121_tpt_11_dp_op_CI_CI_sbrc_unaligned_dirReg ; -- Begin function fft_rtc_back_len121_factors_11_11_wgs_121_tpt_11_dp_op_CI_CI_sbrc_unaligned_dirReg
	.globl	fft_rtc_back_len121_factors_11_11_wgs_121_tpt_11_dp_op_CI_CI_sbrc_unaligned_dirReg
	.p2align	8
	.type	fft_rtc_back_len121_factors_11_11_wgs_121_tpt_11_dp_op_CI_CI_sbrc_unaligned_dirReg,@function
fft_rtc_back_len121_factors_11_11_wgs_121_tpt_11_dp_op_CI_CI_sbrc_unaligned_dirReg: ; @fft_rtc_back_len121_factors_11_11_wgs_121_tpt_11_dp_op_CI_CI_sbrc_unaligned_dirReg
; %bb.0:
	s_load_dwordx8 s[8:15], s[4:5], 0x0
	s_mov_b32 s34, 0
	s_mov_b32 s30, 3
	s_mov_b64 s[36:37], 2
	s_mov_b32 s40, s34
	s_waitcnt lgkmcnt(0)
	s_load_dword s33, s[12:13], 0x8
	s_load_dwordx4 s[20:23], s[4:5], 0x58
	s_load_dwordx2 s[28:29], s[4:5], 0x20
	s_load_dwordx4 s[24:27], s[14:15], 0x0
	s_waitcnt lgkmcnt(0)
	s_add_i32 s0, s33, -1
	s_mul_hi_u32 s0, s0, 0xba2e8ba3
	s_lshr_b32 s0, s0, 3
	s_add_i32 s7, s0, 1
	v_cvt_f32_u32_e32 v1, s7
	s_sub_i32 s2, 0, s7
	s_load_dwordx4 s[16:19], s[28:29], 0x0
	v_cmp_gt_u64_e64 s[0:1], s[10:11], 2
	v_rcp_iflag_f32_e32 v1, v1
	v_mul_f32_e32 v1, 0x4f7ffffe, v1
	v_cvt_u32_f32_e32 v1, v1
	v_readfirstlane_b32 s3, v1
	s_mul_i32 s2, s2, s3
	s_mul_hi_u32 s2, s3, s2
	s_add_i32 s3, s3, s2
	s_mul_hi_u32 s2, s6, s3
	s_mul_i32 s3, s2, s7
	s_sub_i32 s3, s6, s3
	s_add_i32 s4, s2, 1
	s_sub_i32 s5, s3, s7
	s_cmp_ge_u32 s3, s7
	s_cselect_b32 s2, s4, s2
	s_cselect_b32 s3, s5, s3
	s_add_i32 s4, s2, 1
	s_cmp_ge_u32 s3, s7
	s_waitcnt lgkmcnt(0)
	s_cselect_b32 s19, s4, s2
	s_mul_i32 s2, s19, s7
	s_sub_i32 s46, s6, s2
	s_mul_i32 s46, s46, 11
	s_mul_i32 s3, s17, s46
	s_mul_hi_u32 s4, s16, s46
	s_mul_i32 s27, s46, s26
	s_mul_i32 s2, s16, s46
	s_add_i32 s3, s4, s3
	s_and_b64 vcc, exec, s[0:1]
	s_cbranch_vccz .LBB0_9
; %bb.1:
	v_mov_b32_e32 v1, s10
	v_mov_b32_e32 v2, s11
.LBB0_2:                                ; =>This Inner Loop Header: Depth=1
	s_lshl_b64 s[4:5], s[36:37], 3
	s_add_u32 s0, s12, s4
	s_addc_u32 s1, s13, s5
	s_load_dwordx2 s[36:37], s[0:1], 0x0
	s_waitcnt lgkmcnt(0)
	s_mov_b32 s35, s37
	s_cmp_lg_u64 s[34:35], 0
	s_cbranch_scc0 .LBB0_7
; %bb.3:                                ;   in Loop: Header=BB0_2 Depth=1
	v_cvt_f32_u32_e32 v3, s36
	v_cvt_f32_u32_e32 v4, s37
	s_sub_u32 s0, 0, s36
	s_subb_u32 s1, 0, s37
	v_mac_f32_e32 v3, 0x4f800000, v4
	v_rcp_f32_e32 v3, v3
	v_mul_f32_e32 v3, 0x5f7ffffc, v3
	v_mul_f32_e32 v4, 0x2f800000, v3
	v_trunc_f32_e32 v4, v4
	v_mac_f32_e32 v3, 0xcf800000, v4
	v_cvt_u32_f32_e32 v4, v4
	v_cvt_u32_f32_e32 v3, v3
	v_readfirstlane_b32 s31, v4
	v_readfirstlane_b32 s35, v3
	s_mul_i32 s38, s0, s31
	s_mul_hi_u32 s41, s0, s35
	s_mul_i32 s39, s1, s35
	s_add_i32 s38, s41, s38
	s_mul_i32 s42, s0, s35
	s_add_i32 s38, s38, s39
	s_mul_hi_u32 s39, s35, s38
	s_mul_i32 s41, s35, s38
	s_mul_hi_u32 s35, s35, s42
	s_add_u32 s35, s35, s41
	s_addc_u32 s39, 0, s39
	s_mul_hi_u32 s43, s31, s42
	s_mul_i32 s42, s31, s42
	s_add_u32 s35, s35, s42
	s_mul_hi_u32 s41, s31, s38
	s_addc_u32 s35, s39, s43
	s_addc_u32 s39, s41, 0
	s_mul_i32 s38, s31, s38
	s_add_u32 s35, s35, s38
	s_addc_u32 s38, 0, s39
	v_add_co_u32_e32 v3, vcc, s35, v3
	s_cmp_lg_u64 vcc, 0
	s_addc_u32 s31, s31, s38
	v_readfirstlane_b32 s38, v3
	s_mul_i32 s35, s0, s31
	s_mul_hi_u32 s39, s0, s38
	s_add_i32 s35, s39, s35
	s_mul_i32 s1, s1, s38
	s_add_i32 s35, s35, s1
	s_mul_i32 s0, s0, s38
	s_mul_hi_u32 s39, s31, s0
	s_mul_i32 s41, s31, s0
	s_mul_i32 s43, s38, s35
	s_mul_hi_u32 s0, s38, s0
	s_mul_hi_u32 s42, s38, s35
	s_add_u32 s0, s0, s43
	s_addc_u32 s38, 0, s42
	s_add_u32 s0, s0, s41
	s_mul_hi_u32 s1, s31, s35
	s_addc_u32 s0, s38, s39
	s_addc_u32 s1, s1, 0
	s_mul_i32 s35, s31, s35
	s_add_u32 s0, s0, s35
	s_addc_u32 s1, 0, s1
	v_add_co_u32_e32 v3, vcc, s0, v3
	s_cmp_lg_u64 vcc, 0
	s_addc_u32 s0, s31, s1
	v_readfirstlane_b32 s31, v3
	s_mul_hi_u32 s1, s19, s0
	s_mul_i32 s0, s19, s0
	s_mul_hi_u32 s31, s19, s31
	s_add_u32 s0, s31, s0
	s_addc_u32 s31, 0, s1
	s_mul_i32 s0, s37, s31
	s_mul_hi_u32 s1, s36, s31
	s_add_i32 s35, s1, s0
	s_mul_i32 s1, s36, s31
	v_mov_b32_e32 v3, s1
	s_sub_i32 s0, 0, s35
	v_sub_co_u32_e32 v3, vcc, s19, v3
	s_cmp_lg_u64 vcc, 0
	s_subb_u32 s38, s0, s37
	v_subrev_co_u32_e64 v4, s[0:1], s36, v3
	s_cmp_lg_u64 s[0:1], 0
	s_subb_u32 s0, s38, 0
	s_cmp_ge_u32 s0, s37
	v_readfirstlane_b32 s38, v4
	s_cselect_b32 s1, -1, 0
	s_cmp_ge_u32 s38, s36
	s_cselect_b32 s38, -1, 0
	s_cmp_eq_u32 s0, s37
	s_cselect_b32 s0, s38, s1
	s_add_u32 s1, s31, 1
	s_addc_u32 s38, 0, 0
	s_add_u32 s39, s31, 2
	s_addc_u32 s41, 0, 0
	s_cmp_lg_u32 s0, 0
	s_cselect_b32 s0, s39, s1
	s_cselect_b32 s1, s41, s38
	s_cmp_lg_u64 vcc, 0
	s_subb_u32 s35, 0, s35
	s_cmp_ge_u32 s35, s37
	v_readfirstlane_b32 s39, v3
	s_cselect_b32 s38, -1, 0
	s_cmp_ge_u32 s39, s36
	s_cselect_b32 s39, -1, 0
	s_cmp_eq_u32 s35, s37
	s_cselect_b32 s35, s39, s38
	s_cmp_lg_u32 s35, 0
	s_cselect_b32 s1, s1, 0
	s_cselect_b32 s0, s0, s31
	s_cbranch_execnz .LBB0_5
.LBB0_4:                                ;   in Loop: Header=BB0_2 Depth=1
	v_cvt_f32_u32_e32 v3, s36
	s_sub_i32 s0, 0, s36
	v_rcp_iflag_f32_e32 v3, v3
	v_mul_f32_e32 v3, 0x4f7ffffe, v3
	v_cvt_u32_f32_e32 v3, v3
	v_readfirstlane_b32 s1, v3
	s_mul_i32 s0, s0, s1
	s_mul_hi_u32 s0, s1, s0
	s_add_i32 s1, s1, s0
	s_mul_hi_u32 s0, s19, s1
	s_mul_i32 s31, s0, s36
	s_sub_i32 s31, s19, s31
	s_add_i32 s1, s0, 1
	s_sub_i32 s35, s31, s36
	s_cmp_ge_u32 s31, s36
	s_cselect_b32 s0, s1, s0
	s_cselect_b32 s31, s35, s31
	s_add_i32 s1, s0, 1
	s_cmp_ge_u32 s31, s36
	s_cselect_b32 s0, s1, s0
	s_mov_b32 s1, s34
.LBB0_5:                                ;   in Loop: Header=BB0_2 Depth=1
	s_mul_i32 s31, s0, s37
	s_mul_hi_u32 s35, s0, s36
	s_add_i32 s31, s35, s31
	s_mul_i32 s1, s1, s36
	s_add_i32 s31, s31, s1
	s_mul_i32 s1, s0, s36
	s_sub_u32 s1, s19, s1
	s_subb_u32 s19, 0, s31
	s_add_u32 s38, s14, s4
	s_addc_u32 s39, s15, s5
	s_load_dwordx2 s[38:39], s[38:39], 0x0
	s_mul_i32 s7, s7, s36
	s_waitcnt lgkmcnt(0)
	s_mul_i32 s31, s38, s19
	s_mul_hi_u32 s35, s38, s1
	s_add_i32 s31, s35, s31
	s_mul_i32 s35, s39, s1
	s_add_i32 s31, s31, s35
	s_mul_i32 s35, s38, s1
	s_add_u32 s27, s35, s27
	s_addc_u32 s40, s31, s40
	s_add_u32 s4, s28, s4
	s_addc_u32 s5, s29, s5
	s_load_dwordx2 s[4:5], s[4:5], 0x0
	s_waitcnt lgkmcnt(0)
	s_mul_i32 s19, s4, s19
	s_mul_hi_u32 s31, s4, s1
	s_add_i32 s19, s31, s19
	s_mul_i32 s5, s5, s1
	s_mov_b32 s31, s34
	s_add_i32 s19, s19, s5
	s_mul_i32 s1, s4, s1
	v_cmp_ge_u64_e32 vcc, s[30:31], v[1:2]
	s_add_u32 s2, s1, s2
	s_addc_u32 s3, s19, s3
	s_mov_b64 s[36:37], s[30:31]
	s_add_i32 s30, s30, 1
	s_cbranch_vccnz .LBB0_8
; %bb.6:                                ;   in Loop: Header=BB0_2 Depth=1
	s_mov_b32 s19, s0
	s_branch .LBB0_2
.LBB0_7:                                ;   in Loop: Header=BB0_2 Depth=1
                                        ; implicit-def: $sgpr0_sgpr1
	s_branch .LBB0_4
.LBB0_8:
	v_cvt_f32_u32_e32 v1, s7
	s_sub_i32 s0, 0, s7
	v_rcp_iflag_f32_e32 v1, v1
	v_mul_f32_e32 v1, 0x4f7ffffe, v1
	v_cvt_u32_f32_e32 v1, v1
	v_readfirstlane_b32 s1, v1
	s_mul_i32 s0, s0, s1
	s_mul_hi_u32 s0, s1, s0
	s_add_i32 s1, s1, s0
	s_mul_hi_u32 s0, s6, s1
	s_mul_i32 s1, s0, s7
	s_sub_i32 s1, s6, s1
	s_add_i32 s4, s0, 1
	s_sub_i32 s5, s1, s7
	s_cmp_ge_u32 s1, s7
	s_cselect_b32 s0, s4, s0
	s_cselect_b32 s1, s5, s1
	s_add_i32 s4, s0, 1
	s_cmp_ge_u32 s1, s7
	s_cselect_b32 s19, s4, s0
.LBB0_9:
	s_lshl_b64 s[0:1], s[10:11], 3
	s_add_u32 s4, s14, s0
	s_addc_u32 s5, s15, s1
	s_load_dwordx2 s[4:5], s[4:5], 0x0
	v_mul_u32_u24_e32 v1, 0x21e, v0
	v_lshrrev_b32_e32 v3, 16, v1
	v_mul_lo_u16_e32 v1, 0x79, v3
	v_sub_u16_e32 v97, v0, v1
	s_waitcnt lgkmcnt(0)
	s_mul_i32 s5, s5, s19
	s_mul_hi_u32 s6, s4, s19
	s_mul_i32 s4, s4, s19
	s_add_i32 s6, s6, s5
	s_add_u32 s4, s4, s27
	s_addc_u32 s5, s6, s40
	s_add_u32 s0, s28, s0
	s_addc_u32 s1, s29, s1
	s_load_dwordx2 s[0:1], s[0:1], 0x0
	s_add_i32 s6, s46, 11
	s_cmp_le_u32 s6, s33
	s_cselect_b64 s[40:41], -1, 0
	s_mov_b64 s[6:7], -1
	s_and_b64 vcc, exec, s[40:41]
	s_cbranch_vccnz .LBB0_14
; %bb.10:
	v_add_u32_e32 v4, s46, v3
	v_cmp_gt_u32_e32 vcc, s33, v4
	s_and_saveexec_b64 s[6:7], vcc
	s_cbranch_execz .LBB0_13
; %bb.11:
	v_mad_u64_u32 v[1:2], s[10:11], s24, v97, 0
	s_lshl_b64 s[10:11], s[4:5], 4
	s_add_u32 s10, s20, s10
	v_mad_u64_u32 v[5:6], s[12:13], s25, v97, v[2:3]
	s_addc_u32 s11, s21, s11
	v_mov_b32_e32 v6, s11
	v_mov_b32_e32 v2, v5
	v_lshlrev_b64 v[1:2], 4, v[1:2]
	v_lshlrev_b32_e32 v7, 4, v3
	v_add_co_u32_e32 v5, vcc, s10, v1
	v_mul_lo_u32 v1, v3, s26
	v_addc_co_u32_e32 v6, vcc, v6, v2, vcc
	v_mul_u32_u24_e32 v2, 0xb0, v97
	v_add3_u32 v7, v2, v7, 0
	s_mov_b64 s[10:11], 0
	v_mov_b32_e32 v2, 0
.LBB0_12:                               ; =>This Inner Loop Header: Depth=1
	v_lshlrev_b64 v[8:9], 4, v[1:2]
	v_add_u32_e32 v4, 1, v4
	v_add_co_u32_e32 v8, vcc, v5, v8
	v_addc_co_u32_e32 v9, vcc, v6, v9, vcc
	global_load_dwordx4 v[8:11], v[8:9], off
	v_cmp_le_u32_e32 vcc, s33, v4
	v_add_u32_e32 v1, s26, v1
	s_or_b64 s[10:11], vcc, s[10:11]
	s_waitcnt vmcnt(0)
	ds_write_b128 v7, v[8:11]
	v_add_u32_e32 v7, 16, v7
	s_andn2_b64 exec, exec, s[10:11]
	s_cbranch_execnz .LBB0_12
.LBB0_13:
	s_or_b64 exec, exec, s[6:7]
	s_mov_b64 s[6:7], 0
.LBB0_14:
	s_andn2_b64 vcc, exec, s[6:7]
	s_cbranch_vccnz .LBB0_16
; %bb.15:
	v_mad_u64_u32 v[1:2], s[6:7], s24, v97, 0
	v_mul_lo_u32 v44, s26, v3
	s_lshl_b64 s[4:5], s[4:5], 4
	v_mad_u64_u32 v[4:5], s[6:7], s25, v97, v[2:3]
	s_add_u32 s4, s20, s4
	s_addc_u32 s5, s21, s5
	v_mov_b32_e32 v2, v4
	v_lshlrev_b64 v[1:2], 4, v[1:2]
	v_mov_b32_e32 v45, 0
	v_mov_b32_e32 v4, s5
	v_add_co_u32_e32 v48, vcc, s4, v1
	v_addc_co_u32_e32 v49, vcc, v4, v2, vcc
	v_lshlrev_b64 v[1:2], 4, v[44:45]
	v_add_u32_e32 v44, s26, v44
	v_add_co_u32_e32 v1, vcc, v48, v1
	v_lshlrev_b64 v[4:5], 4, v[44:45]
	v_addc_co_u32_e32 v2, vcc, v49, v2, vcc
	v_add_co_u32_e32 v12, vcc, v48, v4
	v_add_u32_e32 v44, s26, v44
	v_addc_co_u32_e32 v13, vcc, v49, v5, vcc
	global_load_dwordx4 v[4:7], v[1:2], off
	global_load_dwordx4 v[8:11], v[12:13], off
	v_lshlrev_b64 v[1:2], 4, v[44:45]
	v_add_u32_e32 v44, s26, v44
	v_add_co_u32_e32 v1, vcc, v48, v1
	v_lshlrev_b64 v[12:13], 4, v[44:45]
	v_addc_co_u32_e32 v2, vcc, v49, v2, vcc
	v_add_co_u32_e32 v20, vcc, v48, v12
	v_add_u32_e32 v44, s26, v44
	v_addc_co_u32_e32 v21, vcc, v49, v13, vcc
	global_load_dwordx4 v[12:15], v[1:2], off
	global_load_dwordx4 v[16:19], v[20:21], off
	v_lshlrev_b64 v[1:2], 4, v[44:45]
	v_add_u32_e32 v44, s26, v44
	v_add_co_u32_e32 v1, vcc, v48, v1
	v_lshlrev_b64 v[20:21], 4, v[44:45]
	v_addc_co_u32_e32 v2, vcc, v49, v2, vcc
	v_add_u32_e32 v44, s26, v44
	v_lshlrev_b64 v[22:23], 4, v[44:45]
	v_add_co_u32_e32 v38, vcc, v48, v20
	v_add_u32_e32 v44, s26, v44
	v_addc_co_u32_e32 v39, vcc, v49, v21, vcc
	v_lshlrev_b64 v[24:25], 4, v[44:45]
	v_add_co_u32_e32 v40, vcc, v48, v22
	v_add_u32_e32 v44, s26, v44
	v_addc_co_u32_e32 v41, vcc, v49, v23, vcc
	;; [unrolled: 4-line block ×3, first 2 shown]
	v_lshlrev_b64 v[46:47], 4, v[44:45]
	global_load_dwordx4 v[20:23], v[1:2], off
	global_load_dwordx4 v[24:27], v[38:39], off
	;; [unrolled: 1-line block ×4, first 2 shown]
	v_add_co_u32_e32 v1, vcc, v48, v36
	v_addc_co_u32_e32 v2, vcc, v49, v37, vcc
	v_add_co_u32_e32 v46, vcc, v48, v46
	v_addc_co_u32_e32 v47, vcc, v49, v47, vcc
	global_load_dwordx4 v[36:39], v[1:2], off
	global_load_dwordx4 v[40:43], v[46:47], off
	v_add_u32_e32 v44, s26, v44
	v_lshlrev_b64 v[1:2], 4, v[44:45]
	v_add_co_u32_e32 v1, vcc, v48, v1
	v_addc_co_u32_e32 v2, vcc, v49, v2, vcc
	global_load_dwordx4 v[44:47], v[1:2], off
	v_mul_u32_u24_e32 v1, 0xb0, v97
	v_lshlrev_b32_e32 v2, 4, v3
	v_add3_u32 v1, 0, v1, v2
	s_waitcnt vmcnt(10)
	ds_write_b128 v1, v[4:7]
	s_waitcnt vmcnt(9)
	ds_write_b128 v1, v[8:11] offset:16
	s_waitcnt vmcnt(8)
	ds_write_b128 v1, v[12:15] offset:32
	;; [unrolled: 2-line block ×10, first 2 shown]
.LBB0_16:
	s_mov_b32 s47, 0x1745d175
	s_movk_i32 s4, 0x1746
	v_mul_hi_u32 v6, v0, s47
	v_mul_u32_u24_sdwa v1, v0, s4 dst_sel:DWORD dst_unused:UNUSED_PAD src0_sel:WORD_0 src1_sel:DWORD
	v_mov_b32_e32 v2, 11
	v_mul_lo_u16_sdwa v1, v1, v2 dst_sel:DWORD dst_unused:UNUSED_PAD src0_sel:WORD_1 src1_sel:DWORD
	v_sub_u16_e32 v98, v0, v1
	v_mul_u32_u24_e32 v1, 0xb0, v6
	v_lshlrev_b32_e32 v2, 4, v98
	v_add3_u32 v5, 0, v1, v2
	s_waitcnt lgkmcnt(0)
	s_barrier
	ds_read_b128 v[1:4], v5
	ds_read_b128 v[7:10], v5 offset:1936
	ds_read_b128 v[11:14], v5 offset:3872
	;; [unrolled: 1-line block ×3, first 2 shown]
	s_mov_b32 s26, 0xf8bb580b
	s_mov_b32 s12, 0x8eee2c13
	;; [unrolled: 1-line block ×3, first 2 shown]
	s_waitcnt lgkmcnt(2)
	v_add_f64 v[19:20], v[1:2], v[7:8]
	v_add_f64 v[21:22], v[3:4], v[9:10]
	s_mov_b32 s20, 0xbb3a28a1
	s_mov_b32 s30, 0xfd768dbf
	;; [unrolled: 1-line block ×6, first 2 shown]
	s_waitcnt lgkmcnt(1)
	v_add_f64 v[19:20], v[19:20], v[11:12]
	v_add_f64 v[21:22], v[21:22], v[13:14]
	ds_read_b128 v[23:26], v5 offset:9680
	s_mov_b32 s31, 0xbfd207e7
	s_mov_b32 s10, 0x8764f0ba
	;; [unrolled: 1-line block ×5, first 2 shown]
	s_waitcnt lgkmcnt(1)
	v_add_f64 v[27:28], v[19:20], v[15:16]
	v_add_f64 v[29:30], v[21:22], v[17:18]
	ds_read_b128 v[19:22], v5 offset:7744
	s_mov_b32 s28, 0x9bcd5057
	s_mov_b32 s11, 0x3feaeb8c
	;; [unrolled: 1-line block ×5, first 2 shown]
	s_waitcnt lgkmcnt(0)
	v_add_f64 v[35:36], v[27:28], v[19:20]
	v_add_f64 v[37:38], v[29:30], v[21:22]
	ds_read_b128 v[27:30], v5 offset:11616
	ds_read_b128 v[31:34], v5 offset:13552
	s_mov_b32 s29, 0xbfeeb42a
	s_mov_b32 s35, 0x3fe14ced
	;; [unrolled: 1-line block ×3, first 2 shown]
	s_waitcnt lgkmcnt(1)
	v_add_f64 v[51:52], v[23:24], v[27:28]
	v_add_f64 v[55:56], v[23:24], -v[27:28]
	v_add_f64 v[47:48], v[35:36], v[23:24]
	v_add_f64 v[49:50], v[37:38], v[25:26]
	s_waitcnt lgkmcnt(0)
	v_add_f64 v[57:58], v[21:22], v[33:34]
	v_add_f64 v[59:60], v[19:20], -v[31:32]
	v_add_f64 v[61:62], v[21:22], -v[33:34]
	ds_read_b128 v[35:38], v5 offset:15488
	ds_read_b128 v[39:42], v5 offset:17424
	;; [unrolled: 1-line block ×3, first 2 shown]
	v_add_f64 v[53:54], v[25:26], v[29:30]
	s_mov_b32 s43, 0x3fed1bb4
	v_add_f64 v[23:24], v[47:48], v[27:28]
	v_add_f64 v[27:28], v[49:50], v[29:30]
	;; [unrolled: 1-line block ×3, first 2 shown]
	s_waitcnt lgkmcnt(2)
	v_add_f64 v[65:66], v[17:18], -v[37:38]
	v_add_f64 v[63:64], v[15:16], v[35:36]
	v_add_f64 v[47:48], v[25:26], -v[29:30]
	s_waitcnt lgkmcnt(1)
	v_add_f64 v[67:68], v[11:12], v[39:40]
	v_add_f64 v[69:70], v[13:14], v[41:42]
	;; [unrolled: 1-line block ×5, first 2 shown]
	v_add_f64 v[33:34], v[15:16], -v[35:36]
	s_waitcnt lgkmcnt(0)
	v_add_f64 v[15:16], v[9:10], -v[45:46]
	v_add_f64 v[23:24], v[9:10], v[45:46]
	s_mov_b32 s42, s12
	s_mov_b32 s37, 0x3fefac9e
	v_add_f64 v[17:18], v[19:20], v[35:36]
	v_add_f64 v[19:20], v[21:22], v[37:38]
	v_add_f64 v[35:36], v[11:12], -v[39:40]
	v_add_f64 v[11:12], v[7:8], v[43:44]
	v_mul_f64 v[21:22], v[15:16], s[26:27]
	v_add_f64 v[37:38], v[13:14], -v[41:42]
	v_mul_f64 v[13:14], v[15:16], s[12:13]
	v_mul_f64 v[25:26], v[15:16], s[14:15]
	v_add_f64 v[9:10], v[17:18], v[39:40]
	v_add_f64 v[17:18], v[19:20], v[41:42]
	v_add_f64 v[19:20], v[7:8], -v[43:44]
	v_mul_f64 v[73:74], v[23:24], s[4:5]
	v_fma_f64 v[27:28], v[11:12], s[10:11], v[21:22]
	v_fma_f64 v[21:22], v[11:12], s[10:11], -v[21:22]
	v_fma_f64 v[29:30], v[11:12], s[6:7], v[13:14]
	v_fma_f64 v[13:14], v[11:12], s[6:7], -v[13:14]
	v_add_f64 v[7:8], v[9:10], v[43:44]
	v_add_f64 v[9:10], v[17:18], v[45:46]
	v_mul_f64 v[17:18], v[15:16], s[20:21]
	v_mul_f64 v[15:16], v[15:16], s[30:31]
	v_fma_f64 v[39:40], v[11:12], s[4:5], v[25:26]
	v_fma_f64 v[25:26], v[11:12], s[4:5], -v[25:26]
	v_mul_f64 v[43:44], v[23:24], s[10:11]
	v_mul_f64 v[77:78], v[23:24], s[24:25]
	s_mov_b32 s36, s14
	s_mov_b32 s45, 0x3fe82f19
	v_fma_f64 v[41:42], v[11:12], s[24:25], v[17:18]
	v_fma_f64 v[17:18], v[11:12], s[24:25], -v[17:18]
	v_fma_f64 v[45:46], v[11:12], s[28:29], v[15:16]
	v_fma_f64 v[11:12], v[11:12], s[28:29], -v[15:16]
	v_mul_f64 v[15:16], v[23:24], s[6:7]
	v_fma_f64 v[71:72], v[19:20], s[34:35], v[43:44]
	v_mul_f64 v[23:24], v[23:24], s[28:29]
	s_mov_b32 s44, s20
	s_mov_b32 s39, 0x3fd207e7
	;; [unrolled: 1-line block ×3, first 2 shown]
	v_fma_f64 v[43:44], v[19:20], s[26:27], v[43:44]
	v_fma_f64 v[79:80], v[19:20], s[36:37], v[73:74]
	;; [unrolled: 1-line block ×9, first 2 shown]
	v_add_f64 v[23:24], v[1:2], v[27:28]
	v_add_f64 v[27:28], v[3:4], v[71:72]
	;; [unrolled: 1-line block ×4, first 2 shown]
	v_mul_f64 v[13:14], v[37:38], s[12:13]
	v_mul_f64 v[85:86], v[69:70], s[6:7]
	;; [unrolled: 1-line block ×4, first 2 shown]
	v_add_f64 v[95:96], v[1:2], v[17:18]
	v_mul_f64 v[99:100], v[57:58], s[24:25]
	v_add_f64 v[21:22], v[1:2], v[21:22]
	v_add_f64 v[43:44], v[3:4], v[43:44]
	v_fma_f64 v[87:88], v[67:68], s[6:7], v[13:14]
	v_fma_f64 v[89:90], v[35:36], s[42:43], v[85:86]
	v_add_f64 v[29:30], v[1:2], v[29:30]
	v_add_f64 v[15:16], v[3:4], v[15:16]
	;; [unrolled: 1-line block ×8, first 2 shown]
	v_fma_f64 v[27:28], v[63:64], s[4:5], v[91:92]
	v_fma_f64 v[87:88], v[33:34], s[36:37], v[93:94]
	v_mul_f64 v[89:90], v[61:62], s[20:21]
	v_add_f64 v[41:42], v[1:2], v[41:42]
	v_add_f64 v[81:82], v[3:4], v[81:82]
	;; [unrolled: 1-line block ×7, first 2 shown]
	v_fma_f64 v[1:2], v[67:68], s[6:7], -v[13:14]
	v_fma_f64 v[3:4], v[35:36], s[12:13], v[85:86]
	v_add_f64 v[11:12], v[27:28], v[17:18]
	v_add_f64 v[13:14], v[87:88], v[23:24]
	v_fma_f64 v[17:18], v[49:50], s[24:25], v[89:90]
	v_fma_f64 v[19:20], v[59:60], s[44:45], v[99:100]
	v_mul_f64 v[23:24], v[47:48], s[30:31]
	v_mul_f64 v[27:28], v[53:54], s[28:29]
	v_add_f64 v[1:2], v[1:2], v[21:22]
	v_add_f64 v[3:4], v[3:4], v[43:44]
	v_fma_f64 v[21:22], v[63:64], s[4:5], -v[91:92]
	v_fma_f64 v[43:44], v[33:34], s[14:15], v[93:94]
	v_add_f64 v[11:12], v[17:18], v[11:12]
	v_add_f64 v[13:14], v[19:20], v[13:14]
	v_fma_f64 v[17:18], v[51:52], s[28:29], v[23:24]
	v_fma_f64 v[19:20], v[55:56], s[38:39], v[27:28]
	v_mul_f64 v[85:86], v[37:38], s[20:21]
	v_mul_f64 v[87:88], v[69:70], s[24:25]
	v_add_f64 v[21:22], v[21:22], v[1:2]
	v_add_f64 v[43:44], v[43:44], v[3:4]
	;; [unrolled: 10-line block ×5, first 2 shown]
	v_fma_f64 v[17:18], v[63:64], s[28:29], -v[17:18]
	v_fma_f64 v[19:20], v[33:34], s[38:39], v[19:20]
	v_add_f64 v[23:24], v[43:44], v[27:28]
	v_add_f64 v[27:28], v[71:72], v[29:30]
	v_fma_f64 v[29:30], v[51:52], s[10:11], v[85:86]
	v_mul_f64 v[71:72], v[37:38], s[38:39]
	v_fma_f64 v[43:44], v[55:56], s[26:27], v[87:88]
	v_mul_f64 v[75:76], v[69:70], s[28:29]
	v_add_f64 v[21:22], v[17:18], v[21:22]
	v_add_f64 v[19:20], v[19:20], v[15:16]
	v_fma_f64 v[89:90], v[49:50], s[4:5], -v[93:94]
	v_fma_f64 v[91:92], v[59:60], s[36:37], v[99:100]
	v_add_f64 v[15:16], v[29:30], v[23:24]
	v_fma_f64 v[23:24], v[67:68], s[28:29], v[71:72]
	v_mul_f64 v[29:30], v[65:66], s[42:43]
	v_add_f64 v[17:18], v[43:44], v[27:28]
	v_fma_f64 v[27:28], v[35:36], s[30:31], v[75:76]
	v_mul_f64 v[43:44], v[31:32], s[6:7]
	v_add_f64 v[21:22], v[89:90], v[21:22]
	v_add_f64 v[89:90], v[91:92], v[19:20]
	v_fma_f64 v[19:20], v[51:52], s[10:11], -v[85:86]
	v_fma_f64 v[85:86], v[55:56], s[34:35], v[87:88]
	v_add_f64 v[23:24], v[23:24], v[39:40]
	v_fma_f64 v[39:40], v[63:64], s[6:7], v[29:30]
	v_mul_f64 v[87:88], v[61:62], s[26:27]
	v_add_f64 v[27:28], v[27:28], v[79:80]
	v_fma_f64 v[79:80], v[33:34], s[12:13], v[43:44]
	v_mul_f64 v[91:92], v[57:58], s[10:11]
	v_fma_f64 v[71:72], v[67:68], s[28:29], -v[71:72]
	v_fma_f64 v[75:76], v[35:36], s[38:39], v[75:76]
	v_add_f64 v[19:20], v[19:20], v[21:22]
	v_add_f64 v[23:24], v[39:40], v[23:24]
	v_fma_f64 v[39:40], v[49:50], s[10:11], v[87:88]
	v_add_f64 v[21:22], v[85:86], v[89:90]
	v_add_f64 v[27:28], v[79:80], v[27:28]
	v_fma_f64 v[79:80], v[59:60], s[34:35], v[91:92]
	v_mul_f64 v[89:90], v[53:54], s[24:25]
	v_add_f64 v[25:26], v[71:72], v[25:26]
	v_add_f64 v[71:72], v[75:76], v[73:74]
	v_fma_f64 v[29:30], v[63:64], s[6:7], -v[29:30]
	v_fma_f64 v[43:44], v[33:34], s[42:43], v[43:44]
	v_add_f64 v[23:24], v[39:40], v[23:24]
	v_mul_f64 v[39:40], v[37:38], s[36:37]
	v_mul_f64 v[73:74], v[69:70], s[4:5]
	;; [unrolled: 1-line block ×3, first 2 shown]
	v_add_f64 v[27:28], v[79:80], v[27:28]
	v_fma_f64 v[79:80], v[55:56], s[44:45], v[89:90]
	v_add_f64 v[29:30], v[29:30], v[25:26]
	v_add_f64 v[43:44], v[43:44], v[71:72]
	v_fma_f64 v[71:72], v[49:50], s[10:11], -v[87:88]
	v_fma_f64 v[87:88], v[59:60], s[26:27], v[91:92]
	v_fma_f64 v[91:92], v[67:68], s[4:5], v[39:40]
	;; [unrolled: 1-line block ×3, first 2 shown]
	v_mul_f64 v[99:100], v[65:66], s[26:27]
	v_fma_f64 v[39:40], v[67:68], s[4:5], -v[39:40]
	v_fma_f64 v[73:74], v[35:36], s[36:37], v[73:74]
	v_fma_f64 v[75:76], v[51:52], s[24:25], v[85:86]
	v_mul_f64 v[105:106], v[31:32], s[10:11]
	v_add_f64 v[25:26], v[79:80], v[27:28]
	v_add_f64 v[27:28], v[71:72], v[29:30]
	;; [unrolled: 1-line block ×3, first 2 shown]
	v_mul_f64 v[79:80], v[61:62], s[30:31]
	v_fma_f64 v[87:88], v[55:56], s[20:21], v[89:90]
	v_add_f64 v[39:40], v[39:40], v[95:96]
	v_add_f64 v[73:74], v[73:74], v[77:78]
	v_fma_f64 v[77:78], v[63:64], s[10:11], -v[99:100]
	v_mul_f64 v[37:38], v[37:38], s[34:35]
	v_mul_f64 v[69:70], v[69:70], s[10:11]
	v_add_f64 v[23:24], v[75:76], v[23:24]
	v_add_f64 v[41:42], v[91:92], v[41:42]
	;; [unrolled: 1-line block ×3, first 2 shown]
	v_fma_f64 v[71:72], v[63:64], s[10:11], v[99:100]
	v_fma_f64 v[75:76], v[33:34], s[34:35], v[105:106]
	v_mul_f64 v[81:82], v[57:58], s[28:29]
	v_add_f64 v[29:30], v[87:88], v[29:30]
	v_add_f64 v[39:40], v[77:78], v[39:40]
	v_fma_f64 v[77:78], v[49:50], s[28:29], -v[79:80]
	v_fma_f64 v[87:88], v[67:68], s[10:11], v[37:38]
	v_fma_f64 v[89:90], v[35:36], s[26:27], v[69:70]
	v_mul_f64 v[65:66], v[65:66], s[20:21]
	v_mul_f64 v[31:32], v[31:32], s[24:25]
	v_fma_f64 v[37:38], v[67:68], s[10:11], -v[37:38]
	v_fma_f64 v[35:36], v[35:36], s[34:35], v[69:70]
	v_fma_f64 v[85:86], v[51:52], s[24:25], -v[85:86]
	v_add_f64 v[41:42], v[71:72], v[41:42]
	v_add_f64 v[43:44], v[75:76], v[43:44]
	v_fma_f64 v[71:72], v[49:50], s[28:29], v[79:80]
	v_fma_f64 v[75:76], v[59:60], s[38:39], v[81:82]
	v_add_f64 v[39:40], v[77:78], v[39:40]
	v_add_f64 v[45:46], v[87:88], v[45:46]
	;; [unrolled: 1-line block ×3, first 2 shown]
	v_fma_f64 v[69:70], v[63:64], s[24:25], v[65:66]
	v_fma_f64 v[77:78], v[33:34], s[44:45], v[31:32]
	v_mul_f64 v[61:62], v[61:62], s[42:43]
	v_mul_f64 v[57:58], v[57:58], s[6:7]
	v_add_f64 v[37:38], v[37:38], v[101:102]
	v_add_f64 v[35:36], v[35:36], v[103:104]
	v_fma_f64 v[63:64], v[63:64], s[24:25], -v[65:66]
	v_fma_f64 v[31:32], v[33:34], s[20:21], v[31:32]
	v_add_f64 v[27:28], v[85:86], v[27:28]
	v_fma_f64 v[85:86], v[33:34], s[26:27], v[105:106]
	v_add_f64 v[41:42], v[71:72], v[41:42]
	v_add_f64 v[43:44], v[75:76], v[43:44]
	v_mul_f64 v[71:72], v[47:48], s[42:43]
	v_mul_f64 v[75:76], v[53:54], s[6:7]
	v_add_f64 v[33:34], v[69:70], v[45:46]
	v_add_f64 v[45:46], v[77:78], v[67:68]
	v_fma_f64 v[65:66], v[49:50], s[6:7], v[61:62]
	v_fma_f64 v[67:68], v[59:60], s[12:13], v[57:58]
	v_mul_f64 v[47:48], v[47:48], s[14:15]
	v_mul_f64 v[53:54], v[53:54], s[4:5]
	v_add_f64 v[37:38], v[63:64], v[37:38]
	v_add_f64 v[31:32], v[31:32], v[35:36]
	v_fma_f64 v[35:36], v[49:50], s[6:7], -v[61:62]
	v_fma_f64 v[49:50], v[59:60], s[42:43], v[57:58]
	v_add_f64 v[73:74], v[85:86], v[73:74]
	v_fma_f64 v[79:80], v[59:60], s[30:31], v[81:82]
	v_fma_f64 v[81:82], v[51:52], s[6:7], v[71:72]
	v_fma_f64 v[85:86], v[55:56], s[12:13], v[75:76]
	v_fma_f64 v[57:58], v[51:52], s[6:7], -v[71:72]
	v_add_f64 v[61:62], v[65:66], v[33:34]
	v_add_f64 v[45:46], v[67:68], v[45:46]
	v_fma_f64 v[63:64], v[51:52], s[4:5], v[47:48]
	v_fma_f64 v[65:66], v[55:56], s[36:37], v[53:54]
	v_add_f64 v[67:68], v[35:36], v[37:38]
	v_add_f64 v[49:50], v[49:50], v[31:32]
	v_fma_f64 v[47:48], v[51:52], s[4:5], -v[47:48]
	v_fma_f64 v[51:52], v[55:56], s[14:15], v[53:54]
	v_add_f64 v[73:74], v[79:80], v[73:74]
	v_fma_f64 v[59:60], v[55:56], s[42:43], v[75:76]
	v_add_f64 v[31:32], v[81:82], v[41:42]
	v_add_f64 v[33:34], v[85:86], v[43:44]
	;; [unrolled: 1-line block ×7, first 2 shown]
	s_movk_i32 s44, 0x6e0
	v_add_f64 v[37:38], v[59:60], v[73:74]
	v_mad_u32_u24 v47, v6, s44, v5
	s_barrier
	ds_write_b128 v47, v[7:10]
	ds_write_b128 v47, v[1:4] offset:176
	ds_write_b128 v47, v[15:18] offset:352
	;; [unrolled: 1-line block ×10, first 2 shown]
	v_add_u32_e32 v1, s46, v98
	v_cmp_gt_u32_e32 vcc, s33, v1
	s_or_b64 s[40:41], s[40:41], vcc
	s_waitcnt lgkmcnt(0)
	s_barrier
	s_and_saveexec_b64 s[44:45], s[40:41]
	s_cbranch_execz .LBB0_18
; %bb.17:
	v_mul_hi_u32 v1, v6, s47
	s_mul_i32 s1, s1, s19
	v_sub_u32_e32 v0, v0, v97
	v_mul_u32_u24_e32 v1, 11, v1
	v_sub_u32_e32 v99, v6, v1
	v_mul_u32_u24_e32 v1, 10, v99
	v_lshlrev_b32_e32 v1, 4, v1
	global_load_dwordx4 v[6:9], v1, s[8:9] offset:64
	global_load_dwordx4 v[10:13], v1, s[8:9] offset:80
	global_load_dwordx4 v[14:17], v1, s[8:9] offset:48
	global_load_dwordx4 v[18:21], v1, s[8:9] offset:96
	global_load_dwordx4 v[25:28], v1, s[8:9] offset:32
	global_load_dwordx4 v[31:34], v1, s[8:9] offset:112
	global_load_dwordx4 v[41:44], v1, s[8:9] offset:16
	global_load_dwordx4 v[45:48], v1, s[8:9] offset:128
	global_load_dwordx4 v[49:52], v1, s[8:9]
	global_load_dwordx4 v[53:56], v1, s[8:9] offset:144
	ds_read_b128 v[35:38], v5 offset:9680
	ds_read_b128 v[57:60], v5 offset:7744
	;; [unrolled: 1-line block ×8, first 2 shown]
	ds_read_b128 v[1:4], v5
	ds_read_b128 v[85:88], v5 offset:1936
	ds_read_b128 v[89:92], v5 offset:19360
	s_mul_hi_u32 s8, s0, s19
	s_add_i32 s1, s8, s1
	s_mul_i32 s0, s0, s19
	s_lshl_b64 s[0:1], s[0:1], 4
	v_add_u32_e32 v0, v0, v99
	s_waitcnt vmcnt(9) lgkmcnt(10)
	v_mul_f64 v[22:23], v[37:38], v[8:9]
	s_waitcnt vmcnt(8) lgkmcnt(8)
	v_mul_f64 v[29:30], v[63:64], v[12:13]
	v_mul_f64 v[8:9], v[35:36], v[8:9]
	s_waitcnt vmcnt(7)
	v_mul_f64 v[93:94], v[59:60], v[16:17]
	s_waitcnt vmcnt(6) lgkmcnt(7)
	v_mul_f64 v[95:96], v[67:68], v[20:21]
	v_mul_f64 v[16:17], v[57:58], v[16:17]
	;; [unrolled: 1-line block ×3, first 2 shown]
	s_waitcnt vmcnt(5) lgkmcnt(6)
	v_mul_f64 v[100:101], v[71:72], v[27:28]
	s_waitcnt vmcnt(1) lgkmcnt(1)
	v_mul_f64 v[114:115], v[87:88], v[51:52]
	;; [unrolled: 2-line block ×3, first 2 shown]
	v_mul_f64 v[118:119], v[85:86], v[51:52]
	v_mul_f64 v[55:56], v[89:90], v[55:56]
	v_mul_f64 v[102:103], v[79:80], v[33:34]
	v_mul_f64 v[104:105], v[69:70], v[27:28]
	v_mul_f64 v[106:107], v[77:78], v[33:34]
	v_mul_f64 v[108:109], v[75:76], v[43:44]
	v_mul_f64 v[110:111], v[83:84], v[47:48]
	v_mul_f64 v[43:44], v[73:74], v[43:44]
	v_mul_f64 v[112:113], v[81:82], v[47:48]
	v_fma_f64 v[27:28], v[35:36], v[6:7], v[22:23]
	v_fma_f64 v[35:36], v[37:38], v[6:7], -v[8:9]
	v_fma_f64 v[33:34], v[61:62], v[10:11], v[29:30]
	v_fma_f64 v[29:30], v[65:66], v[18:19], v[95:96]
	v_fma_f64 v[51:52], v[59:60], v[14:15], -v[16:17]
	v_fma_f64 v[37:38], v[67:68], v[18:19], -v[20:21]
	v_fma_f64 v[85:86], v[85:86], v[49:50], v[114:115]
	v_fma_f64 v[17:18], v[89:90], v[53:54], v[116:117]
	v_fma_f64 v[87:88], v[87:88], v[49:50], -v[118:119]
	v_fma_f64 v[21:22], v[91:92], v[53:54], -v[55:56]
	v_mul_f64 v[12:13], v[61:62], v[12:13]
	v_fma_f64 v[67:68], v[69:70], v[25:26], v[100:101]
	v_fma_f64 v[23:24], v[77:78], v[31:32], v[102:103]
	v_fma_f64 v[71:72], v[71:72], v[25:26], -v[104:105]
	v_fma_f64 v[31:32], v[79:80], v[31:32], -v[106:107]
	v_fma_f64 v[79:80], v[73:74], v[41:42], v[108:109]
	v_fma_f64 v[19:20], v[81:82], v[45:46], v[110:111]
	v_fma_f64 v[81:82], v[75:76], v[41:42], -v[43:44]
	v_fma_f64 v[25:26], v[83:84], v[45:46], -v[112:113]
	v_add_f64 v[95:96], v[85:86], -v[17:18]
	v_add_f64 v[77:78], v[87:88], -v[21:22]
	v_fma_f64 v[39:40], v[63:64], v[10:11], -v[12:13]
	v_fma_f64 v[47:48], v[57:58], v[14:15], v[93:94]
	v_add_f64 v[59:60], v[87:88], v[21:22]
	v_add_f64 v[93:94], v[79:80], -v[19:20]
	v_add_f64 v[73:74], v[85:86], v[17:18]
	v_add_f64 v[75:76], v[81:82], -v[25:26]
	v_mul_f64 v[9:10], v[95:96], s[30:31]
	v_mul_f64 v[13:14], v[77:78], s[30:31]
	v_add_f64 v[83:84], v[27:28], -v[33:34]
	v_add_f64 v[91:92], v[67:68], -v[23:24]
	v_add_f64 v[55:56], v[81:82], v[25:26]
	v_add_f64 v[63:64], v[71:72], -v[31:32]
	v_add_f64 v[69:70], v[79:80], v[19:20]
	v_mul_f64 v[15:16], v[93:94], s[34:35]
	v_mul_f64 v[106:107], v[75:76], s[34:35]
	v_fma_f64 v[126:127], v[59:60], s[28:29], v[9:10]
	v_fma_f64 v[128:129], v[73:74], s[28:29], -v[13:14]
	v_fma_f64 v[9:10], v[59:60], s[28:29], -v[9:10]
	v_fma_f64 v[13:14], v[73:74], s[28:29], v[13:14]
	v_add_f64 v[41:42], v[35:36], v[39:40]
	v_add_f64 v[89:90], v[47:48], -v[29:30]
	v_add_f64 v[49:50], v[71:72], v[31:32]
	v_add_f64 v[61:62], v[51:52], -v[37:38]
	v_add_f64 v[57:58], v[67:68], v[23:24]
	v_mul_f64 v[5:6], v[83:84], s[14:15]
	v_mul_f64 v[11:12], v[91:92], s[20:21]
	;; [unrolled: 1-line block ×4, first 2 shown]
	v_fma_f64 v[130:131], v[55:56], s[10:11], v[15:16]
	v_fma_f64 v[132:133], v[69:70], s[10:11], -v[106:107]
	v_fma_f64 v[15:16], v[55:56], s[10:11], -v[15:16]
	v_fma_f64 v[106:107], v[69:70], s[10:11], v[106:107]
	v_add_f64 v[9:10], v[3:4], v[9:10]
	v_add_f64 v[13:14], v[1:2], v[13:14]
	;; [unrolled: 1-line block ×3, first 2 shown]
	v_add_f64 v[65:66], v[35:36], -v[39:40]
	v_add_f64 v[53:54], v[47:48], v[29:30]
	v_mul_f64 v[7:8], v[89:90], s[42:43]
	v_mul_f64 v[102:103], v[61:62], s[42:43]
	;; [unrolled: 1-line block ×4, first 2 shown]
	v_fma_f64 v[134:135], v[49:50], s[24:25], v[11:12]
	v_fma_f64 v[136:137], v[57:58], s[24:25], -v[104:105]
	v_fma_f64 v[11:12], v[49:50], s[24:25], -v[11:12]
	v_fma_f64 v[104:105], v[57:58], s[24:25], v[104:105]
	v_fma_f64 v[142:143], v[41:42], s[4:5], v[5:6]
	v_fma_f64 v[146:147], v[41:42], s[4:5], -v[5:6]
	v_add_f64 v[5:6], v[3:4], v[126:127]
	v_add_f64 v[126:127], v[1:2], v[128:129]
	v_fma_f64 v[128:129], v[59:60], s[24:25], v[116:117]
	v_add_f64 v[9:10], v[15:16], v[9:10]
	v_add_f64 v[13:14], v[106:107], v[13:14]
	;; [unrolled: 1-line block ×3, first 2 shown]
	v_mul_f64 v[100:101], v[65:66], s[14:15]
	v_mul_f64 v[112:113], v[91:92], s[26:27]
	;; [unrolled: 1-line block ×3, first 2 shown]
	v_fma_f64 v[138:139], v[43:44], s[6:7], v[7:8]
	v_fma_f64 v[140:141], v[53:54], s[6:7], -v[102:103]
	v_fma_f64 v[7:8], v[43:44], s[6:7], -v[7:8]
	v_fma_f64 v[102:103], v[53:54], s[6:7], v[102:103]
	v_fma_f64 v[148:149], v[73:74], s[24:25], -v[122:123]
	v_fma_f64 v[116:117], v[59:60], s[24:25], -v[116:117]
	v_fma_f64 v[150:151], v[55:56], s[4:5], v[114:115]
	v_add_f64 v[9:10], v[11:12], v[9:10]
	v_add_f64 v[11:12], v[104:105], v[13:14]
	v_add_f64 v[104:105], v[3:4], v[128:129]
	v_mul_f64 v[110:111], v[89:90], s[30:31]
	v_mul_f64 v[118:119], v[63:64], s[26:27]
	v_fma_f64 v[144:145], v[45:46], s[4:5], -v[100:101]
	v_fma_f64 v[100:101], v[45:46], s[4:5], v[100:101]
	v_fma_f64 v[15:16], v[69:70], s[4:5], -v[120:121]
	v_fma_f64 v[106:107], v[55:56], s[4:5], -v[114:115]
	v_fma_f64 v[122:123], v[73:74], s[24:25], v[122:123]
	v_fma_f64 v[13:14], v[49:50], s[10:11], v[112:113]
	v_add_f64 v[128:129], v[1:2], v[148:149]
	v_add_f64 v[116:117], v[3:4], v[116:117]
	;; [unrolled: 1-line block ×5, first 2 shown]
	v_mul_f64 v[108:109], v[83:84], s[42:43]
	v_mul_f64 v[124:125], v[61:62], s[30:31]
	v_add_f64 v[5:6], v[130:131], v[5:6]
	v_add_f64 v[126:127], v[132:133], v[126:127]
	v_fma_f64 v[130:131], v[57:58], s[10:11], -v[118:119]
	v_add_f64 v[15:16], v[15:16], v[128:129]
	v_add_f64 v[106:107], v[106:107], v[116:117]
	v_add_f64 v[11:12], v[146:147], v[9:10]
	v_add_f64 v[9:10], v[100:101], v[102:103]
	v_fma_f64 v[100:101], v[43:44], s[28:29], v[110:111]
	v_fma_f64 v[102:103], v[49:50], s[10:11], -v[112:113]
	v_fma_f64 v[112:113], v[69:70], s[4:5], v[120:121]
	v_add_f64 v[116:117], v[1:2], v[122:123]
	v_add_f64 v[13:14], v[13:14], v[104:105]
	v_mul_f64 v[104:105], v[95:96], s[14:15]
	v_fma_f64 v[114:115], v[41:42], s[6:7], v[108:109]
	v_add_f64 v[5:6], v[134:135], v[5:6]
	v_add_f64 v[126:127], v[136:137], v[126:127]
	;; [unrolled: 1-line block ×3, first 2 shown]
	v_fma_f64 v[120:121], v[53:54], s[28:29], -v[124:125]
	v_fma_f64 v[110:111], v[43:44], s[28:29], -v[110:111]
	v_add_f64 v[102:103], v[102:103], v[106:107]
	v_fma_f64 v[106:107], v[57:58], s[10:11], v[118:119]
	v_add_f64 v[112:113], v[112:113], v[116:117]
	v_mul_f64 v[116:117], v[93:94], s[38:39]
	v_fma_f64 v[118:119], v[59:60], s[4:5], v[104:105]
	v_add_f64 v[13:14], v[100:101], v[13:14]
	v_mul_f64 v[122:123], v[77:78], s[14:15]
	v_add_f64 v[5:6], v[138:139], v[5:6]
	v_add_f64 v[126:127], v[140:141], v[126:127]
	v_mul_f64 v[100:101], v[65:66], s[42:43]
	v_add_f64 v[120:121], v[120:121], v[15:16]
	v_add_f64 v[102:103], v[110:111], v[102:103]
	v_fma_f64 v[110:111], v[53:54], s[28:29], v[124:125]
	v_add_f64 v[106:107], v[106:107], v[112:113]
	v_fma_f64 v[112:113], v[55:56], s[28:29], v[116:117]
	v_add_f64 v[118:119], v[3:4], v[118:119]
	v_mul_f64 v[124:125], v[91:92], s[42:43]
	v_add_f64 v[15:16], v[114:115], v[13:14]
	v_mul_f64 v[114:115], v[75:76], s[38:39]
	v_fma_f64 v[13:14], v[73:74], s[4:5], -v[122:123]
	v_add_f64 v[7:8], v[142:143], v[5:6]
	v_add_f64 v[5:6], v[144:145], v[126:127]
	v_fma_f64 v[126:127], v[45:46], s[6:7], -v[100:101]
	v_fma_f64 v[104:105], v[59:60], s[4:5], -v[104:105]
	v_mul_f64 v[128:129], v[89:90], s[26:27]
	v_add_f64 v[112:113], v[112:113], v[118:119]
	v_fma_f64 v[118:119], v[49:50], s[6:7], v[124:125]
	v_fma_f64 v[130:131], v[69:70], s[28:29], -v[114:115]
	v_add_f64 v[132:133], v[1:2], v[13:14]
	v_mul_f64 v[134:135], v[63:64], s[42:43]
	v_fma_f64 v[108:109], v[41:42], s[6:7], -v[108:109]
	v_fma_f64 v[100:101], v[45:46], s[6:7], v[100:101]
	v_fma_f64 v[116:117], v[55:56], s[28:29], -v[116:117]
	v_add_f64 v[104:105], v[3:4], v[104:105]
	v_add_f64 v[106:107], v[110:111], v[106:107]
	;; [unrolled: 1-line block ×3, first 2 shown]
	v_fma_f64 v[110:111], v[43:44], s[10:11], v[128:129]
	v_add_f64 v[112:113], v[118:119], v[112:113]
	v_add_f64 v[118:119], v[130:131], v[132:133]
	v_fma_f64 v[120:121], v[73:74], s[4:5], v[122:123]
	v_fma_f64 v[122:123], v[57:58], s[6:7], -v[134:135]
	v_add_f64 v[104:105], v[116:117], v[104:105]
	v_mul_f64 v[116:117], v[61:62], s[26:27]
	v_add_f64 v[102:103], v[108:109], v[102:103]
	v_add_f64 v[100:101], v[100:101], v[106:107]
	v_fma_f64 v[106:107], v[69:70], s[28:29], v[114:115]
	v_add_f64 v[110:111], v[110:111], v[112:113]
	v_add_f64 v[108:109], v[1:2], v[120:121]
	v_add_f64 v[112:113], v[122:123], v[118:119]
	v_mul_f64 v[122:123], v[95:96], s[12:13]
	v_fma_f64 v[124:125], v[49:50], s[6:7], -v[124:125]
	v_fma_f64 v[114:115], v[53:54], s[10:11], -v[116:117]
	v_mul_f64 v[118:119], v[83:84], s[20:21]
	v_fma_f64 v[126:127], v[43:44], s[10:11], -v[128:129]
	v_mul_f64 v[128:129], v[93:94], s[20:21]
	v_add_f64 v[106:107], v[106:107], v[108:109]
	v_mul_f64 v[108:109], v[77:78], s[12:13]
	v_fma_f64 v[130:131], v[59:60], s[6:7], v[122:123]
	v_add_f64 v[104:105], v[124:125], v[104:105]
	v_fma_f64 v[120:121], v[57:58], s[6:7], v[134:135]
	v_mul_f64 v[124:125], v[65:66], s[20:21]
	v_add_f64 v[112:113], v[114:115], v[112:113]
	v_fma_f64 v[114:115], v[41:42], s[24:25], v[118:119]
	v_mul_f64 v[134:135], v[75:76], s[20:21]
	v_fma_f64 v[132:133], v[73:74], s[6:7], -v[108:109]
	v_mul_f64 v[138:139], v[91:92], s[38:39]
	v_fma_f64 v[140:141], v[55:56], s[24:25], v[128:129]
	v_add_f64 v[130:131], v[3:4], v[130:131]
	v_fma_f64 v[116:117], v[53:54], s[10:11], v[116:117]
	v_add_f64 v[120:121], v[120:121], v[106:107]
	v_fma_f64 v[136:137], v[45:46], s[24:25], -v[124:125]
	v_add_f64 v[126:127], v[126:127], v[104:105]
	v_add_f64 v[104:105], v[1:2], v[132:133]
	v_fma_f64 v[132:133], v[69:70], s[24:25], -v[134:135]
	v_add_f64 v[106:107], v[114:115], v[110:111]
	v_fma_f64 v[110:111], v[41:42], s[24:25], -v[118:119]
	v_fma_f64 v[114:115], v[49:50], s[28:29], v[138:139]
	v_add_f64 v[118:119], v[140:141], v[130:131]
	v_mul_f64 v[130:131], v[89:90], s[36:37]
	v_fma_f64 v[124:125], v[45:46], s[24:25], v[124:125]
	v_add_f64 v[116:117], v[116:117], v[120:121]
	v_add_f64 v[132:133], v[132:133], v[104:105]
	;; [unrolled: 1-line block ×3, first 2 shown]
	v_mul_f64 v[142:143], v[63:64], s[38:39]
	v_add_f64 v[110:111], v[110:111], v[126:127]
	v_add_f64 v[112:113], v[114:115], v[118:119]
	v_fma_f64 v[114:115], v[43:44], s[4:5], v[130:131]
	v_fma_f64 v[118:119], v[59:60], s[6:7], -v[122:123]
	v_fma_f64 v[126:127], v[73:74], s[6:7], v[108:109]
	v_add_f64 v[108:109], v[124:125], v[116:117]
	v_mul_f64 v[120:121], v[61:62], s[36:37]
	v_fma_f64 v[140:141], v[57:58], s[28:29], -v[142:143]
	v_add_f64 v[85:86], v[1:2], v[85:86]
	v_mul_f64 v[95:96], v[95:96], s[26:27]
	v_add_f64 v[112:113], v[114:115], v[112:113]
	v_fma_f64 v[114:115], v[55:56], s[24:25], -v[128:129]
	v_add_f64 v[116:117], v[3:4], v[118:119]
	v_mul_f64 v[128:129], v[83:84], s[34:35]
	v_add_f64 v[124:125], v[1:2], v[126:127]
	v_add_f64 v[122:123], v[140:141], v[132:133]
	v_fma_f64 v[132:133], v[53:54], s[4:5], -v[120:121]
	v_add_f64 v[79:80], v[85:86], v[79:80]
	v_fma_f64 v[126:127], v[59:60], s[10:11], v[95:96]
	v_mul_f64 v[93:94], v[93:94], s[12:13]
	v_add_f64 v[114:115], v[114:115], v[116:117]
	v_fma_f64 v[116:117], v[49:50], s[28:29], -v[138:139]
	v_fma_f64 v[136:137], v[41:42], s[10:11], v[128:129]
	v_fma_f64 v[59:60], v[59:60], s[10:11], -v[95:96]
	v_add_f64 v[122:123], v[132:133], v[122:123]
	v_mul_f64 v[132:133], v[65:66], s[34:35]
	v_add_f64 v[126:127], v[3:4], v[126:127]
	v_mul_f64 v[91:92], v[91:92], s[14:15]
	v_fma_f64 v[118:119], v[69:70], s[24:25], v[134:135]
	v_add_f64 v[114:115], v[116:117], v[114:115]
	v_fma_f64 v[116:117], v[43:44], s[4:5], -v[130:131]
	v_mul_f64 v[130:131], v[89:90], s[20:21]
	v_add_f64 v[89:90], v[136:137], v[112:113]
	v_add_f64 v[112:113], v[3:4], v[87:88]
	v_fma_f64 v[138:139], v[45:46], s[10:11], -v[132:133]
	v_add_f64 v[3:4], v[3:4], v[59:60]
	v_fma_f64 v[134:135], v[55:56], s[6:7], v[93:94]
	v_mul_f64 v[63:64], v[63:64], s[14:15]
	v_mul_f64 v[83:84], v[83:84], s[30:31]
	;; [unrolled: 1-line block ×3, first 2 shown]
	v_add_f64 v[118:119], v[118:119], v[124:125]
	v_add_f64 v[81:82], v[112:113], v[81:82]
	v_add_f64 v[87:88], v[138:139], v[122:123]
	v_add_f64 v[122:123], v[79:80], v[67:68]
	v_fma_f64 v[124:125], v[57:58], s[28:29], v[142:143]
	v_mul_f64 v[65:66], v[65:66], s[30:31]
	v_fma_f64 v[120:121], v[53:54], s[4:5], v[120:121]
	v_add_f64 v[114:115], v[116:117], v[114:115]
	v_fma_f64 v[85:86], v[41:42], s[10:11], -v[128:129]
	v_add_f64 v[71:72], v[81:82], v[71:72]
	v_mul_f64 v[81:82], v[77:78], s[26:27]
	v_add_f64 v[47:48], v[122:123], v[47:48]
	v_add_f64 v[118:119], v[124:125], v[118:119]
	;; [unrolled: 1-line block ×3, first 2 shown]
	v_fma_f64 v[126:127], v[49:50], s[4:5], v[91:92]
	v_fma_f64 v[112:113], v[45:46], s[10:11], v[132:133]
	v_add_f64 v[79:80], v[85:86], v[114:115]
	v_add_f64 v[51:52], v[71:72], v[51:52]
	v_mul_f64 v[71:72], v[75:76], s[12:13]
	v_add_f64 v[27:28], v[47:48], v[27:28]
	v_fma_f64 v[75:76], v[73:74], s[10:11], -v[81:82]
	v_fma_f64 v[73:74], v[73:74], s[10:11], v[81:82]
	v_fma_f64 v[47:48], v[55:56], s[6:7], -v[93:94]
	v_add_f64 v[116:117], v[120:121], v[118:119]
	v_add_f64 v[118:119], v[126:127], v[124:125]
	;; [unrolled: 1-line block ×3, first 2 shown]
	v_fma_f64 v[55:56], v[69:70], s[6:7], v[71:72]
	v_add_f64 v[27:28], v[27:28], v[33:34]
	v_add_f64 v[75:76], v[1:2], v[75:76]
	;; [unrolled: 1-line block ×3, first 2 shown]
	v_fma_f64 v[33:34], v[49:50], s[4:5], -v[91:92]
	v_add_f64 v[3:4], v[47:48], v[3:4]
	v_fma_f64 v[47:48], v[57:58], s[4:5], v[63:64]
	v_add_f64 v[35:36], v[35:36], v[39:40]
	v_fma_f64 v[39:40], v[57:58], s[4:5], -v[63:64]
	v_add_f64 v[27:28], v[27:28], v[29:30]
	v_fma_f64 v[29:30], v[43:44], s[24:25], -v[130:131]
	v_add_f64 v[1:2], v[55:56], v[1:2]
	v_add_f64 v[77:78], v[112:113], v[116:117]
	;; [unrolled: 1-line block ×3, first 2 shown]
	v_fma_f64 v[33:34], v[53:54], s[24:25], v[61:62]
	v_add_f64 v[35:36], v[35:36], v[37:38]
	v_fma_f64 v[51:52], v[69:70], s[6:7], -v[71:72]
	v_add_f64 v[23:24], v[27:28], v[23:24]
	v_fma_f64 v[27:28], v[41:42], s[28:29], -v[83:84]
	v_add_f64 v[1:2], v[47:48], v[1:2]
	v_fma_f64 v[120:121], v[43:44], s[24:25], v[130:131]
	v_add_f64 v[3:4], v[29:30], v[3:4]
	v_fma_f64 v[29:30], v[45:46], s[28:29], v[65:66]
	v_add_f64 v[31:32], v[35:36], v[31:32]
	v_add_f64 v[51:52], v[51:52], v[75:76]
	;; [unrolled: 1-line block ×3, first 2 shown]
	v_fma_f64 v[37:38], v[53:54], s[24:25], -v[61:62]
	v_add_f64 v[1:2], v[33:34], v[1:2]
	v_add_f64 v[118:119], v[120:121], v[118:119]
	;; [unrolled: 1-line block ×3, first 2 shown]
	v_fma_f64 v[120:121], v[41:42], s[28:29], v[83:84]
	v_add_f64 v[25:26], v[31:32], v[25:26]
	v_mad_u64_u32 v[31:32], s[4:5], s16, v98, 0
	v_add_f64 v[17:18], v[23:24], v[17:18]
	v_add_f64 v[1:2], v[29:30], v[1:2]
	v_mov_b32_e32 v19, v32
	v_mad_u64_u32 v[27:28], s[4:5], s17, v98, v[19:20]
	s_add_u32 s4, s22, s0
	v_add_f64 v[19:20], v[25:26], v[21:22]
	v_mov_b32_e32 v32, v27
	v_mul_lo_u32 v21, v0, s18
	s_addc_u32 s5, s23, s1
	s_lshl_b64 s[0:1], s[2:3], 4
	s_add_u32 s0, s4, s0
	v_lshlrev_b64 v[23:24], 4, v[31:32]
	s_addc_u32 s1, s5, s1
	v_mov_b32_e32 v22, 0
	v_mov_b32_e32 v0, s1
	v_add_co_u32_e32 v25, vcc, s0, v23
	v_addc_co_u32_e32 v26, vcc, v0, v24, vcc
	v_lshlrev_b64 v[23:24], 4, v[21:22]
	s_mul_i32 s0, s18, 11
	v_add_co_u32_e32 v23, vcc, v25, v23
	v_addc_co_u32_e32 v24, vcc, v26, v24, vcc
	v_add_u32_e32 v21, s0, v21
	global_store_dwordx4 v[23:24], v[17:20], off
	v_add_f64 v[39:40], v[39:40], v[51:52]
	v_lshlrev_b64 v[17:18], 4, v[21:22]
	v_add_u32_e32 v21, s0, v21
	v_add_co_u32_e32 v17, vcc, v25, v17
	v_addc_co_u32_e32 v18, vcc, v26, v18, vcc
	global_store_dwordx4 v[17:18], v[1:4], off
	v_fma_f64 v[35:36], v[45:46], s[28:29], -v[65:66]
	v_lshlrev_b64 v[0:1], 4, v[21:22]
	v_add_u32_e32 v21, s0, v21
	v_add_co_u32_e32 v0, vcc, v25, v0
	v_addc_co_u32_e32 v1, vcc, v26, v1, vcc
	global_store_dwordx4 v[0:1], v[77:80], off
	v_lshlrev_b64 v[0:1], 4, v[21:22]
	v_add_u32_e32 v21, s0, v21
	v_add_co_u32_e32 v0, vcc, v25, v0
	v_addc_co_u32_e32 v1, vcc, v26, v1, vcc
	global_store_dwordx4 v[0:1], v[108:111], off
	;; [unrolled: 5-line block ×4, first 2 shown]
	v_lshlrev_b64 v[0:1], 4, v[21:22]
	v_add_u32_e32 v21, s0, v21
	v_add_co_u32_e32 v0, vcc, v25, v0
	v_addc_co_u32_e32 v1, vcc, v26, v1, vcc
	v_add_f64 v[37:38], v[37:38], v[39:40]
	global_store_dwordx4 v[0:1], v[5:8], off
	v_lshlrev_b64 v[0:1], 4, v[21:22]
	v_add_u32_e32 v21, s0, v21
	v_add_co_u32_e32 v0, vcc, v25, v0
	v_addc_co_u32_e32 v1, vcc, v26, v1, vcc
	global_store_dwordx4 v[0:1], v[13:16], off
	v_lshlrev_b64 v[0:1], 4, v[21:22]
	v_add_u32_e32 v21, s0, v21
	v_add_co_u32_e32 v0, vcc, v25, v0
	v_addc_co_u32_e32 v1, vcc, v26, v1, vcc
	v_add_f64 v[67:68], v[120:121], v[118:119]
	v_add_f64 v[65:66], v[35:36], v[37:38]
	global_store_dwordx4 v[0:1], v[104:107], off
	v_lshlrev_b64 v[0:1], 4, v[21:22]
	v_add_u32_e32 v21, s0, v21
	v_add_co_u32_e32 v0, vcc, v25, v0
	v_addc_co_u32_e32 v1, vcc, v26, v1, vcc
	global_store_dwordx4 v[0:1], v[87:90], off
	v_lshlrev_b64 v[0:1], 4, v[21:22]
	v_add_co_u32_e32 v0, vcc, v25, v0
	v_addc_co_u32_e32 v1, vcc, v26, v1, vcc
	global_store_dwordx4 v[0:1], v[65:68], off
.LBB0_18:
	s_endpgm
	.section	.rodata,"a",@progbits
	.p2align	6, 0x0
	.amdhsa_kernel fft_rtc_back_len121_factors_11_11_wgs_121_tpt_11_dp_op_CI_CI_sbrc_unaligned_dirReg
		.amdhsa_group_segment_fixed_size 0
		.amdhsa_private_segment_fixed_size 0
		.amdhsa_kernarg_size 104
		.amdhsa_user_sgpr_count 6
		.amdhsa_user_sgpr_private_segment_buffer 1
		.amdhsa_user_sgpr_dispatch_ptr 0
		.amdhsa_user_sgpr_queue_ptr 0
		.amdhsa_user_sgpr_kernarg_segment_ptr 1
		.amdhsa_user_sgpr_dispatch_id 0
		.amdhsa_user_sgpr_flat_scratch_init 0
		.amdhsa_user_sgpr_private_segment_size 0
		.amdhsa_uses_dynamic_stack 0
		.amdhsa_system_sgpr_private_segment_wavefront_offset 0
		.amdhsa_system_sgpr_workgroup_id_x 1
		.amdhsa_system_sgpr_workgroup_id_y 0
		.amdhsa_system_sgpr_workgroup_id_z 0
		.amdhsa_system_sgpr_workgroup_info 0
		.amdhsa_system_vgpr_workitem_id 0
		.amdhsa_next_free_vgpr 152
		.amdhsa_next_free_sgpr 48
		.amdhsa_reserve_vcc 1
		.amdhsa_reserve_flat_scratch 0
		.amdhsa_float_round_mode_32 0
		.amdhsa_float_round_mode_16_64 0
		.amdhsa_float_denorm_mode_32 3
		.amdhsa_float_denorm_mode_16_64 3
		.amdhsa_dx10_clamp 1
		.amdhsa_ieee_mode 1
		.amdhsa_fp16_overflow 0
		.amdhsa_exception_fp_ieee_invalid_op 0
		.amdhsa_exception_fp_denorm_src 0
		.amdhsa_exception_fp_ieee_div_zero 0
		.amdhsa_exception_fp_ieee_overflow 0
		.amdhsa_exception_fp_ieee_underflow 0
		.amdhsa_exception_fp_ieee_inexact 0
		.amdhsa_exception_int_div_zero 0
	.end_amdhsa_kernel
	.text
.Lfunc_end0:
	.size	fft_rtc_back_len121_factors_11_11_wgs_121_tpt_11_dp_op_CI_CI_sbrc_unaligned_dirReg, .Lfunc_end0-fft_rtc_back_len121_factors_11_11_wgs_121_tpt_11_dp_op_CI_CI_sbrc_unaligned_dirReg
                                        ; -- End function
	.section	.AMDGPU.csdata,"",@progbits
; Kernel info:
; codeLenInByte = 8020
; NumSgprs: 52
; NumVgprs: 152
; ScratchSize: 0
; MemoryBound: 0
; FloatMode: 240
; IeeeMode: 1
; LDSByteSize: 0 bytes/workgroup (compile time only)
; SGPRBlocks: 6
; VGPRBlocks: 37
; NumSGPRsForWavesPerEU: 52
; NumVGPRsForWavesPerEU: 152
; Occupancy: 1
; WaveLimiterHint : 1
; COMPUTE_PGM_RSRC2:SCRATCH_EN: 0
; COMPUTE_PGM_RSRC2:USER_SGPR: 6
; COMPUTE_PGM_RSRC2:TRAP_HANDLER: 0
; COMPUTE_PGM_RSRC2:TGID_X_EN: 1
; COMPUTE_PGM_RSRC2:TGID_Y_EN: 0
; COMPUTE_PGM_RSRC2:TGID_Z_EN: 0
; COMPUTE_PGM_RSRC2:TIDIG_COMP_CNT: 0
	.type	__hip_cuid_85f25975ded0412f,@object ; @__hip_cuid_85f25975ded0412f
	.section	.bss,"aw",@nobits
	.globl	__hip_cuid_85f25975ded0412f
__hip_cuid_85f25975ded0412f:
	.byte	0                               ; 0x0
	.size	__hip_cuid_85f25975ded0412f, 1

	.ident	"AMD clang version 19.0.0git (https://github.com/RadeonOpenCompute/llvm-project roc-6.4.0 25133 c7fe45cf4b819c5991fe208aaa96edf142730f1d)"
	.section	".note.GNU-stack","",@progbits
	.addrsig
	.addrsig_sym __hip_cuid_85f25975ded0412f
	.amdgpu_metadata
---
amdhsa.kernels:
  - .args:
      - .actual_access:  read_only
        .address_space:  global
        .offset:         0
        .size:           8
        .value_kind:     global_buffer
      - .offset:         8
        .size:           8
        .value_kind:     by_value
      - .actual_access:  read_only
        .address_space:  global
        .offset:         16
        .size:           8
        .value_kind:     global_buffer
      - .actual_access:  read_only
        .address_space:  global
        .offset:         24
        .size:           8
        .value_kind:     global_buffer
      - .actual_access:  read_only
        .address_space:  global
        .offset:         32
        .size:           8
        .value_kind:     global_buffer
      - .offset:         40
        .size:           8
        .value_kind:     by_value
      - .actual_access:  read_only
        .address_space:  global
        .offset:         48
        .size:           8
        .value_kind:     global_buffer
      - .actual_access:  read_only
        .address_space:  global
        .offset:         56
        .size:           8
        .value_kind:     global_buffer
      - .offset:         64
        .size:           4
        .value_kind:     by_value
      - .actual_access:  read_only
        .address_space:  global
        .offset:         72
        .size:           8
        .value_kind:     global_buffer
      - .actual_access:  read_only
        .address_space:  global
        .offset:         80
        .size:           8
        .value_kind:     global_buffer
      - .actual_access:  read_only
        .address_space:  global
        .offset:         88
        .size:           8
        .value_kind:     global_buffer
      - .actual_access:  write_only
        .address_space:  global
        .offset:         96
        .size:           8
        .value_kind:     global_buffer
    .group_segment_fixed_size: 0
    .kernarg_segment_align: 8
    .kernarg_segment_size: 104
    .language:       OpenCL C
    .language_version:
      - 2
      - 0
    .max_flat_workgroup_size: 121
    .name:           fft_rtc_back_len121_factors_11_11_wgs_121_tpt_11_dp_op_CI_CI_sbrc_unaligned_dirReg
    .private_segment_fixed_size: 0
    .sgpr_count:     52
    .sgpr_spill_count: 0
    .symbol:         fft_rtc_back_len121_factors_11_11_wgs_121_tpt_11_dp_op_CI_CI_sbrc_unaligned_dirReg.kd
    .uniform_work_group_size: 1
    .uses_dynamic_stack: false
    .vgpr_count:     152
    .vgpr_spill_count: 0
    .wavefront_size: 64
amdhsa.target:   amdgcn-amd-amdhsa--gfx906
amdhsa.version:
  - 1
  - 2
...

	.end_amdgpu_metadata
